;; amdgpu-corpus repo=ROCm/rocFFT kind=compiled arch=gfx906 opt=O3
	.text
	.amdgcn_target "amdgcn-amd-amdhsa--gfx906"
	.amdhsa_code_object_version 6
	.protected	bluestein_single_back_len539_dim1_sp_op_CI_CI ; -- Begin function bluestein_single_back_len539_dim1_sp_op_CI_CI
	.globl	bluestein_single_back_len539_dim1_sp_op_CI_CI
	.p2align	8
	.type	bluestein_single_back_len539_dim1_sp_op_CI_CI,@function
bluestein_single_back_len539_dim1_sp_op_CI_CI: ; @bluestein_single_back_len539_dim1_sp_op_CI_CI
; %bb.0:
	v_mul_u32_u24_e32 v1, 0x354, v0
	s_load_dwordx4 s[0:3], s[4:5], 0x28
	v_lshrrev_b32_e32 v1, 16, v1
	v_mad_u64_u32 v[44:45], s[6:7], s6, 3, v[1:2]
	v_mov_b32_e32 v45, 0
	s_waitcnt lgkmcnt(0)
	v_cmp_gt_u64_e32 vcc, s[0:1], v[44:45]
	s_and_saveexec_b64 s[0:1], vcc
	s_cbranch_execz .LBB0_15
; %bb.1:
	s_mov_b32 s0, 0xaaaaaaab
	v_mul_hi_u32 v2, v44, s0
	v_mul_lo_u16_e32 v1, 0x4d, v1
	s_load_dwordx2 s[12:13], s[4:5], 0x0
	s_load_dwordx2 s[14:15], s[4:5], 0x38
	v_sub_u16_e32 v48, v0, v1
	v_lshrrev_b32_e32 v0, 1, v2
	v_lshl_add_u32 v0, v0, 1, v0
	v_sub_u32_e32 v0, v44, v0
	v_mul_u32_u24_e32 v28, 0x21b, v0
	v_cmp_gt_u16_e64 s[0:1], 49, v48
	v_lshlrev_b32_e32 v47, 3, v48
	v_lshlrev_b32_e32 v49, 3, v28
	s_and_saveexec_b64 s[6:7], s[0:1]
	s_cbranch_execz .LBB0_3
; %bb.2:
	s_load_dwordx2 s[8:9], s[4:5], 0x18
	s_waitcnt lgkmcnt(0)
	s_load_dwordx4 s[8:11], s[8:9], 0x0
	s_waitcnt lgkmcnt(0)
	v_mad_u64_u32 v[0:1], s[16:17], s10, v44, 0
	v_mad_u64_u32 v[2:3], s[16:17], s8, v48, 0
	;; [unrolled: 1-line block ×4, first 2 shown]
	v_mov_b32_e32 v1, v4
	v_lshlrev_b64 v[0:1], 3, v[0:1]
	v_mov_b32_e32 v3, v5
	v_mov_b32_e32 v6, s3
	v_lshlrev_b64 v[2:3], 3, v[2:3]
	v_add_co_u32_e32 v0, vcc, s2, v0
	v_addc_co_u32_e32 v1, vcc, v6, v1, vcc
	v_add_co_u32_e32 v0, vcc, v0, v2
	s_mul_i32 s2, s9, 0x188
	s_mul_hi_u32 s3, s8, 0x188
	v_addc_co_u32_e32 v1, vcc, v1, v3, vcc
	s_mulk_i32 s8, 0x188
	s_add_i32 s2, s3, s2
	v_mov_b32_e32 v3, s2
	v_add_co_u32_e32 v2, vcc, s8, v0
	v_addc_co_u32_e32 v3, vcc, v1, v3, vcc
	v_mov_b32_e32 v5, s2
	v_add_co_u32_e32 v4, vcc, s8, v2
	v_addc_co_u32_e32 v5, vcc, v3, v5, vcc
	global_load_dwordx2 v[6:7], v[0:1], off
	global_load_dwordx2 v[8:9], v[2:3], off
	;; [unrolled: 1-line block ×3, first 2 shown]
	global_load_dwordx2 v[12:13], v47, s[12:13]
	global_load_dwordx2 v[14:15], v47, s[12:13] offset:392
	global_load_dwordx2 v[16:17], v47, s[12:13] offset:784
	;; [unrolled: 1-line block ×9, first 2 shown]
	v_mov_b32_e32 v1, s2
	v_add_co_u32_e32 v0, vcc, s8, v4
	v_addc_co_u32_e32 v1, vcc, v5, v1, vcc
	v_mov_b32_e32 v33, s2
	global_load_dwordx2 v[2:3], v[0:1], off
	v_add_co_u32_e32 v0, vcc, s8, v0
	v_addc_co_u32_e32 v1, vcc, v1, v33, vcc
	v_mov_b32_e32 v34, s2
	global_load_dwordx2 v[4:5], v[0:1], off
	;; [unrolled: 4-line block ×7, first 2 shown]
	v_add_co_u32_e32 v0, vcc, s8, v0
	v_addc_co_u32_e32 v1, vcc, v1, v43, vcc
	global_load_dwordx2 v[45:46], v47, s[12:13] offset:3920
	global_load_dwordx2 v[50:51], v[0:1], off
	s_waitcnt vmcnt(18)
	v_mul_f32_e32 v0, v7, v13
	v_mul_f32_e32 v1, v6, v13
	v_fmac_f32_e32 v0, v6, v12
	s_waitcnt vmcnt(17)
	v_mul_f32_e32 v6, v8, v15
	v_fma_f32 v1, v7, v12, -v1
	v_fma_f32 v7, v9, v14, -v6
	v_mul_f32_e32 v6, v9, v15
	v_fmac_f32_e32 v6, v8, v14
	s_waitcnt vmcnt(16)
	v_mul_f32_e32 v8, v10, v17
	v_fma_f32 v9, v11, v16, -v8
	v_mul_f32_e32 v8, v11, v17
	v_fmac_f32_e32 v8, v10, v16
	v_lshl_add_u32 v10, v48, 3, v49
	ds_write_b64 v10, v[0:1]
	v_add_u32_e32 v10, v49, v47
	ds_write2_b64 v10, v[6:7], v[8:9] offset0:49 offset1:98
	s_waitcnt vmcnt(8)
	v_mul_f32_e32 v0, v3, v19
	v_mul_f32_e32 v1, v2, v19
	v_fmac_f32_e32 v0, v2, v18
	v_fma_f32 v1, v3, v18, -v1
	s_waitcnt vmcnt(7)
	v_mul_f32_e32 v2, v5, v21
	v_mul_f32_e32 v3, v4, v21
	v_fmac_f32_e32 v2, v4, v20
	v_fma_f32 v3, v5, v20, -v3
	ds_write2_b64 v10, v[0:1], v[2:3] offset0:147 offset1:196
	v_add_u32_e32 v4, 0x400, v10
	s_waitcnt vmcnt(6)
	v_mul_f32_e32 v0, v34, v23
	v_mul_f32_e32 v1, v33, v23
	v_fmac_f32_e32 v0, v33, v22
	v_fma_f32 v1, v34, v22, -v1
	s_waitcnt vmcnt(5)
	v_mul_f32_e32 v2, v36, v25
	v_mul_f32_e32 v3, v35, v25
	v_fmac_f32_e32 v2, v35, v24
	v_fma_f32 v3, v36, v24, -v3
	ds_write2_b64 v4, v[0:1], v[2:3] offset0:117 offset1:166
	v_add_u32_e32 v4, 0x800, v10
	s_waitcnt vmcnt(4)
	v_mul_f32_e32 v0, v38, v27
	v_mul_f32_e32 v1, v37, v27
	v_fmac_f32_e32 v0, v37, v26
	v_fma_f32 v1, v38, v26, -v1
	s_waitcnt vmcnt(3)
	v_mul_f32_e32 v2, v40, v30
	v_mul_f32_e32 v3, v39, v30
	v_fmac_f32_e32 v2, v39, v29
	v_fma_f32 v3, v40, v29, -v3
	ds_write2_b64 v4, v[0:1], v[2:3] offset0:87 offset1:136
	s_waitcnt vmcnt(2)
	v_mul_f32_e32 v0, v42, v32
	v_mul_f32_e32 v1, v41, v32
	v_fmac_f32_e32 v0, v41, v31
	v_fma_f32 v1, v42, v31, -v1
	s_waitcnt vmcnt(0)
	v_mul_f32_e32 v2, v51, v46
	v_mul_f32_e32 v3, v50, v46
	v_fmac_f32_e32 v2, v50, v45
	v_fma_f32 v3, v51, v45, -v3
	ds_write2_b64 v4, v[0:1], v[2:3] offset0:185 offset1:234
.LBB0_3:
	s_or_b64 exec, exec, s[6:7]
	s_load_dwordx2 s[6:7], s[4:5], 0x20
	s_load_dwordx2 s[2:3], s[4:5], 0x8
	v_mov_b32_e32 v8, 0
	v_mov_b32_e32 v9, 0
	s_waitcnt lgkmcnt(0)
	s_barrier
	s_waitcnt lgkmcnt(0)
                                        ; implicit-def: $vgpr12
                                        ; implicit-def: $vgpr24
                                        ; implicit-def: $vgpr4
                                        ; implicit-def: $vgpr22
                                        ; implicit-def: $vgpr18
	s_and_saveexec_b64 s[4:5], s[0:1]
	s_cbranch_execz .LBB0_5
; %bb.4:
	v_lshl_add_u32 v0, v28, 3, v47
	v_add_u32_e32 v1, 0x800, v0
	ds_read2_b64 v[8:11], v0 offset1:49
	ds_read2_b64 v[16:19], v0 offset0:98 offset1:147
	ds_read2_b64 v[20:23], v0 offset0:196 offset1:245
	;; [unrolled: 1-line block ×4, first 2 shown]
	ds_read_b64 v[4:5], v0 offset:3920
.LBB0_5:
	s_or_b64 exec, exec, s[4:5]
	s_waitcnt lgkmcnt(0)
	v_sub_f32_e32 v52, v11, v5
	v_mul_f32_e32 v32, 0xbf0a6770, v52
	v_sub_f32_e32 v57, v17, v27
	v_add_f32_e32 v29, v4, v10
	v_sub_f32_e32 v55, v10, v4
	v_mov_b32_e32 v0, v32
	v_mul_f32_e32 v37, 0xbf68dda4, v57
	v_add_f32_e32 v30, v5, v11
	s_mov_b32 s8, 0x3f575c64
	v_mul_f32_e32 v34, 0xbf0a6770, v55
	v_fmac_f32_e32 v0, 0x3f575c64, v29
	v_add_f32_e32 v31, v26, v16
	v_sub_f32_e32 v59, v16, v26
	v_mov_b32_e32 v2, v37
	v_add_f32_e32 v0, v0, v8
	v_fma_f32 v1, v30, s8, -v34
	s_mov_b32 s9, 0x3ed4b147
	v_add_f32_e32 v33, v27, v17
	v_mul_f32_e32 v38, 0xbf68dda4, v59
	v_fmac_f32_e32 v2, 0x3ed4b147, v31
	v_sub_f32_e32 v60, v19, v25
	v_add_f32_e32 v1, v1, v9
	v_add_f32_e32 v0, v2, v0
	v_fma_f32 v2, v33, s9, -v38
	v_mul_f32_e32 v40, 0xbf7d64f0, v60
	v_add_f32_e32 v1, v2, v1
	v_add_f32_e32 v35, v24, v18
	v_sub_f32_e32 v64, v18, v24
	v_mov_b32_e32 v2, v40
	s_mov_b32 s10, 0xbe11bafb
	v_add_f32_e32 v36, v25, v19
	v_mul_f32_e32 v42, 0xbf7d64f0, v64
	v_fmac_f32_e32 v2, 0xbe11bafb, v35
	v_sub_f32_e32 v70, v21, v15
	v_add_f32_e32 v0, v2, v0
	v_fma_f32 v2, v36, s10, -v42
	v_mul_f32_e32 v51, 0xbf4178ce, v70
	v_add_f32_e32 v1, v2, v1
	v_add_f32_e32 v39, v14, v20
	v_mov_b32_e32 v2, v51
	v_sub_f32_e32 v73, v20, v14
	v_fmac_f32_e32 v2, 0xbf27a4f4, v39
	s_mov_b32 s11, 0xbf27a4f4
	v_add_f32_e32 v41, v15, v21
	v_mul_f32_e32 v54, 0xbf4178ce, v73
	v_sub_f32_e32 v76, v23, v13
	v_add_f32_e32 v0, v2, v0
	v_fma_f32 v2, v41, s11, -v54
	v_mul_f32_e32 v56, 0xbe903f40, v76
	v_add_f32_e32 v1, v2, v1
	v_add_f32_e32 v43, v12, v22
	v_mov_b32_e32 v2, v56
	v_sub_f32_e32 v80, v22, v12
	s_mov_b32 s16, 0xbf75a155
	v_fmac_f32_e32 v2, 0xbf75a155, v43
	v_add_f32_e32 v53, v13, v23
	v_mul_f32_e32 v58, 0xbe903f40, v80
	v_add_f32_e32 v45, v2, v0
	v_fma_f32 v0, v53, s16, -v58
	v_mul_f32_e32 v61, 0xbf68dda4, v52
	v_add_f32_e32 v46, v0, v1
	v_mov_b32_e32 v0, v61
	v_mul_f32_e32 v62, 0xbf4178ce, v57
	v_fmac_f32_e32 v0, 0x3ed4b147, v29
	v_mov_b32_e32 v1, v62
	v_add_f32_e32 v0, v0, v8
	v_fmac_f32_e32 v1, 0xbf27a4f4, v31
	v_mul_f32_e32 v66, 0xbf68dda4, v55
	v_add_f32_e32 v0, v1, v0
	v_fma_f32 v1, v30, s9, -v66
	v_mul_f32_e32 v67, 0xbf4178ce, v59
	v_add_f32_e32 v1, v1, v9
	v_fma_f32 v2, v33, s11, -v67
	v_mul_f32_e32 v63, 0x3e903f40, v60
	v_add_f32_e32 v1, v2, v1
	v_mov_b32_e32 v2, v63
	v_fmac_f32_e32 v2, 0xbf75a155, v35
	v_mul_f32_e32 v69, 0x3e903f40, v64
	v_add_f32_e32 v0, v2, v0
	v_fma_f32 v2, v36, s16, -v69
	v_mul_f32_e32 v65, 0x3f7d64f0, v70
	v_add_f32_e32 v1, v2, v1
	v_mov_b32_e32 v2, v65
	v_fmac_f32_e32 v2, 0xbe11bafb, v39
	;; [unrolled: 7-line block ×3, first 2 shown]
	v_mul_f32_e32 v72, 0x3f0a6770, v80
	v_mul_f32_e32 v74, 0xbf7d64f0, v52
	v_fma_f32 v3, v53, s8, -v72
	v_add_f32_e32 v2, v2, v0
	v_mov_b32_e32 v0, v74
	v_mul_f32_e32 v75, 0x3e903f40, v57
	v_add_f32_e32 v3, v3, v1
	v_fmac_f32_e32 v0, 0xbe11bafb, v29
	v_mov_b32_e32 v1, v75
	v_add_f32_e32 v0, v0, v8
	v_fmac_f32_e32 v1, 0xbf75a155, v31
	v_mul_f32_e32 v77, 0x3f68dda4, v60
	v_add_f32_e32 v0, v1, v0
	v_mov_b32_e32 v1, v77
	v_fmac_f32_e32 v1, 0x3ed4b147, v35
	v_mul_f32_e32 v78, 0xbf0a6770, v70
	v_add_f32_e32 v0, v1, v0
	v_mov_b32_e32 v1, v78
	;; [unrolled: 4-line block ×3, first 2 shown]
	v_fmac_f32_e32 v1, 0xbf27a4f4, v43
	v_mul_f32_e32 v81, 0xbf7d64f0, v55
	v_add_f32_e32 v0, v1, v0
	v_fma_f32 v1, v30, s10, -v81
	v_mul_f32_e32 v82, 0x3e903f40, v59
	v_add_f32_e32 v1, v1, v9
	v_fma_f32 v6, v33, s16, -v82
	;; [unrolled: 3-line block ×5, first 2 shown]
	v_mul_f32_e32 v86, 0xbf4178ce, v52
	v_add_f32_e32 v1, v6, v1
	v_mov_b32_e32 v6, v86
	v_mul_f32_e32 v87, 0x3f7d64f0, v57
	v_fmac_f32_e32 v6, 0xbf27a4f4, v29
	v_mov_b32_e32 v7, v87
	v_add_f32_e32 v6, v6, v8
	v_fmac_f32_e32 v7, 0xbe11bafb, v31
	v_mul_f32_e32 v91, 0xbf4178ce, v55
	v_add_f32_e32 v6, v7, v6
	v_fma_f32 v7, v30, s11, -v91
	v_mul_f32_e32 v92, 0x3f7d64f0, v59
	v_add_f32_e32 v7, v7, v9
	v_fma_f32 v50, v33, s10, -v92
	v_mul_f32_e32 v88, 0xbf0a6770, v60
	v_add_f32_e32 v7, v50, v7
	v_mov_b32_e32 v50, v88
	v_fmac_f32_e32 v50, 0x3f575c64, v35
	v_mul_f32_e32 v93, 0xbf0a6770, v64
	v_add_f32_e32 v6, v50, v6
	v_fma_f32 v50, v36, s8, -v93
	v_mul_f32_e32 v89, 0xbe903f40, v70
	v_add_f32_e32 v7, v50, v7
	v_mov_b32_e32 v50, v89
	v_fmac_f32_e32 v50, 0xbf75a155, v39
	v_mul_f32_e32 v94, 0xbe903f40, v73
	v_add_f32_e32 v6, v50, v6
	v_fma_f32 v50, v41, s16, -v94
	v_mul_f32_e32 v90, 0x3f68dda4, v76
	v_add_f32_e32 v7, v50, v7
	v_mov_b32_e32 v50, v90
	v_mul_f32_e32 v95, 0x3f68dda4, v80
	v_fmac_f32_e32 v50, 0x3ed4b147, v43
	v_fma_f32 v96, v53, s9, -v95
	v_add_f32_e32 v6, v50, v6
	v_add_f32_e32 v7, v96, v7
	v_mul_lo_u16_e32 v50, 11, v48
	s_barrier
	s_and_saveexec_b64 s[4:5], s[0:1]
	s_cbranch_execz .LBB0_7
; %bb.6:
	v_mul_f32_e32 v55, 0xbe903f40, v55
	v_mov_b32_e32 v96, v55
	v_mul_f32_e32 v124, 0x3f0a6770, v59
	v_fmac_f32_e32 v96, 0xbf75a155, v30
	v_mov_b32_e32 v59, v124
	v_mul_f32_e32 v125, 0xbf4178ce, v64
	v_add_f32_e32 v96, v96, v9
	v_fmac_f32_e32 v59, 0x3f575c64, v33
	v_mov_b32_e32 v64, v125
	v_add_f32_e32 v59, v59, v96
	v_fmac_f32_e32 v64, 0xbf27a4f4, v36
	v_mul_f32_e32 v73, 0x3f68dda4, v73
	v_add_f32_e32 v59, v64, v59
	v_mov_b32_e32 v64, v73
	v_fmac_f32_e32 v64, 0x3ed4b147, v41
	v_mul_f32_e32 v80, 0xbf7d64f0, v80
	v_add_f32_e32 v59, v64, v59
	v_mov_b32_e32 v64, v80
	v_fmac_f32_e32 v64, 0xbe11bafb, v53
	v_mul_f32_e32 v52, 0xbe903f40, v52
	v_add_f32_e32 v97, v64, v59
	v_fma_f32 v59, v29, s16, -v52
	v_mul_f32_e32 v57, 0x3f0a6770, v57
	v_add_f32_e32 v10, v10, v8
	v_add_f32_e32 v59, v59, v8
	v_fma_f32 v64, v31, s8, -v57
	v_mul_f32_e32 v126, 0xbf4178ce, v60
	v_add_f32_e32 v10, v16, v10
	;; [unrolled: 4-line block ×4, first 2 shown]
	v_mul_f32_e32 v99, 0x3f575c64, v30
	v_mul_f32_e32 v105, 0xbf27a4f4, v30
	v_add_f32_e32 v59, v60, v59
	v_fma_f32 v60, v43, s10, -v127
	v_add_f32_e32 v10, v22, v10
	v_mul_f32_e32 v107, 0x3ed4b147, v33
	v_mul_f32_e32 v113, 0xbe11bafb, v33
	v_add_f32_e32 v96, v60, v59
	v_add_f32_e32 v59, v91, v105
	;; [unrolled: 1-line block ×5, first 2 shown]
	v_mul_f32_e32 v115, 0xbe11bafb, v36
	v_mul_f32_e32 v121, 0x3f575c64, v36
	v_add_f32_e32 v60, v92, v113
	v_add_f32_e32 v59, v59, v9
	;; [unrolled: 1-line block ×6, first 2 shown]
	v_mul_f32_e32 v123, 0xbf27a4f4, v41
	v_add_f32_e32 v59, v60, v59
	v_add_f32_e32 v60, v93, v121
	v_mul_f32_e32 v93, 0xbf75a155, v41
	v_add_f32_e32 v34, v38, v34
	v_add_f32_e32 v38, v42, v115
	;; [unrolled: 1-line block ×4, first 2 shown]
	v_mul_f32_e32 v98, 0x3f575c64, v29
	v_mul_f32_e32 v101, 0x3ed4b147, v30
	;; [unrolled: 1-line block ×3, first 2 shown]
	v_add_f32_e32 v59, v60, v59
	v_add_f32_e32 v60, v94, v93
	v_mul_f32_e32 v93, 0xbf75a155, v53
	v_add_f32_e32 v34, v38, v34
	v_add_f32_e32 v38, v54, v123
	;; [unrolled: 1-line block ×4, first 2 shown]
	v_mul_f32_e32 v100, 0x3ed4b147, v29
	v_mul_f32_e32 v102, 0xbe11bafb, v29
	;; [unrolled: 1-line block ×4, first 2 shown]
	v_add_f32_e32 v81, v81, v103
	v_add_f32_e32 v66, v66, v101
	;; [unrolled: 1-line block ×4, first 2 shown]
	v_sub_f32_e32 v32, v98, v32
	v_add_f32_e32 v11, v23, v11
	v_add_f32_e32 v4, v4, v10
	v_fma_f32 v10, v30, s16, -v55
	v_mul_f32_e32 v108, 0xbf27a4f4, v31
	v_mul_f32_e32 v109, 0xbf27a4f4, v33
	;; [unrolled: 1-line block ×6, first 2 shown]
	v_sub_f32_e32 v86, v104, v86
	v_add_f32_e32 v81, v81, v9
	v_sub_f32_e32 v74, v102, v74
	v_add_f32_e32 v66, v66, v9
	;; [unrolled: 2-line block ×3, first 2 shown]
	v_add_f32_e32 v32, v32, v8
	v_sub_f32_e32 v34, v106, v37
	v_add_f32_e32 v11, v13, v11
	v_add_f32_e32 v9, v10, v9
	v_fma_f32 v10, v33, s8, -v124
	v_fmac_f32_e32 v52, 0xbf75a155, v29
	v_mul_f32_e32 v116, 0xbf75a155, v35
	v_mul_f32_e32 v117, 0xbf75a155, v36
	;; [unrolled: 1-line block ×6, first 2 shown]
	v_add_f32_e32 v59, v60, v59
	v_mul_f32_e32 v60, 0x3ed4b147, v53
	v_sub_f32_e32 v87, v112, v87
	v_add_f32_e32 v86, v86, v8
	v_add_f32_e32 v82, v82, v111
	v_add_f32_e32 v74, v74, v8
	v_sub_f32_e32 v75, v110, v75
	v_add_f32_e32 v67, v67, v109
	v_add_f32_e32 v61, v61, v8
	v_sub_f32_e32 v62, v108, v62
	v_add_f32_e32 v32, v34, v32
	v_sub_f32_e32 v34, v114, v40
	v_add_f32_e32 v11, v15, v11
	v_add_f32_e32 v9, v10, v9
	v_fma_f32 v10, v36, s11, -v125
	v_add_f32_e32 v8, v52, v8
	v_fmac_f32_e32 v57, 0x3f575c64, v31
	v_mul_f32_e32 v128, 0xbe11bafb, v39
	v_mul_f32_e32 v64, 0xbe11bafb, v41
	;; [unrolled: 1-line block ×6, first 2 shown]
	v_add_f32_e32 v60, v95, v60
	v_add_f32_e32 v86, v87, v86
	v_sub_f32_e32 v88, v120, v88
	v_add_f32_e32 v81, v82, v81
	v_add_f32_e32 v82, v83, v119
	v_add_f32_e32 v74, v75, v74
	v_sub_f32_e32 v75, v118, v77
	v_add_f32_e32 v66, v67, v66
	v_add_f32_e32 v67, v69, v117
	v_add_f32_e32 v61, v62, v61
	v_sub_f32_e32 v62, v116, v63
	v_add_f32_e32 v32, v34, v32
	v_sub_f32_e32 v34, v122, v51
	v_add_f32_e32 v11, v25, v11
	v_add_f32_e32 v9, v10, v9
	v_fma_f32 v10, v41, s9, -v73
	v_add_f32_e32 v8, v57, v8
	v_fmac_f32_e32 v126, 0xbf27a4f4, v35
	v_mul_f32_e32 v94, 0x3f575c64, v43
	v_mul_f32_e32 v95, 0x3f575c64, v53
	;; [unrolled: 1-line block ×5, first 2 shown]
	v_add_f32_e32 v60, v60, v59
	v_add_f32_e32 v59, v88, v86
	v_sub_f32_e32 v86, v92, v89
	v_add_f32_e32 v81, v82, v81
	v_add_f32_e32 v76, v84, v76
	v_add_f32_e32 v74, v75, v74
	v_sub_f32_e32 v75, v91, v78
	v_add_f32_e32 v66, v67, v66
	;; [unrolled: 4-line block ×3, first 2 shown]
	v_sub_f32_e32 v34, v105, v56
	v_add_f32_e32 v11, v27, v11
	v_add_f32_e32 v9, v10, v9
	v_fma_f32 v10, v53, s10, -v80
	v_add_f32_e32 v8, v126, v8
	v_fmac_f32_e32 v70, 0x3ed4b147, v39
	v_add_f32_e32 v59, v86, v59
	v_sub_f32_e32 v86, v112, v90
	v_add_f32_e32 v76, v76, v81
	v_add_f32_e32 v81, v85, v87
	v_add_f32_e32 v74, v75, v74
	v_sub_f32_e32 v75, v104, v79
	v_add_f32_e32 v64, v64, v66
	v_add_f32_e32 v66, v72, v95
	;; [unrolled: 4-line block ×3, first 2 shown]
	v_add_f32_e32 v9, v10, v9
	v_add_f32_e32 v8, v70, v8
	v_fmac_f32_e32 v127, 0xbe11bafb, v43
	v_add_lshl_u32 v10, v28, v50, 3
	v_add_f32_e32 v59, v86, v59
	v_add_f32_e32 v76, v81, v76
	;; [unrolled: 1-line block ×6, first 2 shown]
	ds_write2_b64 v10, v[4:5], v[37:38] offset1:1
	ds_write2_b64 v10, v[63:64], v[75:76] offset0:2 offset1:3
	ds_write2_b64 v10, v[59:60], v[96:97] offset0:4 offset1:5
	;; [unrolled: 1-line block ×4, first 2 shown]
	ds_write_b64 v10, v[45:46] offset:80
.LBB0_7:
	s_or_b64 exec, exec, s[4:5]
	s_movk_i32 s8, 0x75
	v_mul_lo_u16_sdwa v4, v48, s8 dst_sel:DWORD dst_unused:UNUSED_PAD src0_sel:BYTE_0 src1_sel:DWORD
	v_sub_u16_sdwa v5, v48, v4 dst_sel:DWORD dst_unused:UNUSED_PAD src0_sel:DWORD src1_sel:BYTE_1
	v_lshrrev_b16_e32 v5, 1, v5
	v_and_b32_e32 v5, 0x7f, v5
	v_add_u16_sdwa v4, v5, v4 dst_sel:DWORD dst_unused:UNUSED_PAD src0_sel:DWORD src1_sel:BYTE_1
	v_lshrrev_b16_e32 v33, 3, v4
	v_mul_lo_u16_e32 v4, 11, v33
	v_sub_u16_e32 v34, v48, v4
	v_mov_b32_e32 v4, 6
	v_mul_u32_u24_sdwa v4, v34, v4 dst_sel:DWORD dst_unused:UNUSED_PAD src0_sel:BYTE_0 src1_sel:DWORD
	v_lshlrev_b32_e32 v4, 3, v4
	s_load_dwordx4 s[4:7], s[6:7], 0x0
	s_waitcnt lgkmcnt(0)
	s_barrier
	global_load_dwordx4 v[16:19], v4, s[2:3]
	global_load_dwordx4 v[12:15], v4, s[2:3] offset:16
	global_load_dwordx4 v[8:11], v4, s[2:3] offset:32
	v_add_lshl_u32 v52, v28, v48, 3
	ds_read2_b64 v[20:23], v52 offset1:77
	ds_read2_b64 v[24:27], v52 offset0:154 offset1:231
	v_add_u32_e32 v40, 0x800, v52
	ds_read_b64 v[4:5], v52 offset:3696
	ds_read2_b64 v[29:32], v40 offset0:52 offset1:129
	s_mov_b32 s9, 0x3f3bfb3b
	s_mov_b32 s8, 0x3f5ff5aa
	s_mov_b32 s10, 0xbf3bfb3b
	s_mov_b32 s11, 0xbeae86e6
	v_mul_u32_u24_e32 v33, 0x4d, v33
	v_add_u32_sdwa v33, v33, v34 dst_sel:DWORD dst_unused:UNUSED_PAD src0_sel:DWORD src1_sel:BYTE_0
	s_waitcnt vmcnt(0) lgkmcnt(0)
	s_barrier
	v_mul_f32_e32 v35, v23, v17
	v_mul_f32_e32 v36, v22, v17
	;; [unrolled: 1-line block ×12, first 2 shown]
	v_fma_f32 v22, v22, v16, -v35
	v_fmac_f32_e32 v36, v23, v16
	v_fma_f32 v23, v24, v18, -v37
	v_fmac_f32_e32 v38, v25, v18
	v_fma_f32 v24, v26, v12, -v39
	v_fma_f32 v26, v31, v8, -v51
	v_fmac_f32_e32 v53, v32, v8
	v_fma_f32 v4, v4, v10, -v54
	v_fmac_f32_e32 v55, v5, v10
	v_fmac_f32_e32 v41, v27, v12
	v_fma_f32 v25, v29, v14, -v42
	v_fmac_f32_e32 v43, v30, v14
	v_add_f32_e32 v5, v22, v4
	v_add_f32_e32 v27, v36, v55
	;; [unrolled: 1-line block ×4, first 2 shown]
	v_sub_f32_e32 v4, v22, v4
	v_sub_f32_e32 v22, v36, v55
	;; [unrolled: 1-line block ×4, first 2 shown]
	v_add_f32_e32 v31, v24, v25
	v_add_f32_e32 v32, v41, v43
	v_sub_f32_e32 v24, v25, v24
	v_sub_f32_e32 v25, v43, v41
	v_add_f32_e32 v35, v29, v5
	v_add_f32_e32 v36, v30, v27
	v_sub_f32_e32 v37, v29, v5
	v_sub_f32_e32 v38, v30, v27
	;; [unrolled: 1-line block ×6, first 2 shown]
	v_add_f32_e32 v39, v24, v23
	v_add_f32_e32 v41, v25, v26
	;; [unrolled: 1-line block ×4, first 2 shown]
	v_sub_f32_e32 v42, v24, v23
	v_sub_f32_e32 v43, v25, v26
	;; [unrolled: 1-line block ×6, first 2 shown]
	v_add_f32_e32 v35, v39, v4
	v_add_f32_e32 v22, v41, v22
	v_mul_f32_e32 v36, 0x3f4a47b2, v5
	v_mul_f32_e32 v39, 0x3d64c772, v29
	;; [unrolled: 1-line block ×3, first 2 shown]
	v_add_f32_e32 v4, v20, v31
	v_add_f32_e32 v5, v21, v32
	v_mul_f32_e32 v27, 0x3f4a47b2, v27
	v_mul_f32_e32 v42, 0xbf08b237, v42
	;; [unrolled: 1-line block ×3, first 2 shown]
	v_fma_f32 v20, v37, s9, -v39
	v_fma_f32 v21, v38, s9, -v41
	v_mov_b32_e32 v39, v4
	v_mov_b32_e32 v41, v5
	v_mul_f32_e32 v51, 0x3f5ff5aa, v23
	v_mul_f32_e32 v53, 0x3f5ff5aa, v26
	v_fmac_f32_e32 v39, 0xbf955555, v31
	v_fmac_f32_e32 v41, 0xbf955555, v32
	v_fma_f32 v31, v37, s10, -v36
	v_fmac_f32_e32 v36, 0x3d64c772, v29
	v_fma_f32 v29, v38, s10, -v27
	;; [unrolled: 2-line block ×5, first 2 shown]
	v_fma_f32 v37, v25, s11, -v53
	v_add_f32_e32 v36, v36, v39
	v_add_f32_e32 v38, v27, v41
	v_fmac_f32_e32 v42, 0x3ee1c552, v35
	v_fmac_f32_e32 v43, 0x3ee1c552, v22
	v_add_f32_e32 v27, v20, v39
	v_add_f32_e32 v51, v21, v41
	;; [unrolled: 1-line block ×4, first 2 shown]
	v_fmac_f32_e32 v30, 0x3ee1c552, v35
	v_fmac_f32_e32 v26, 0x3ee1c552, v22
	;; [unrolled: 1-line block ×4, first 2 shown]
	v_add_f32_e32 v20, v43, v36
	v_sub_f32_e32 v21, v38, v42
	v_add_lshl_u32 v53, v28, v33, 3
	v_add_f32_e32 v22, v37, v31
	v_sub_f32_e32 v23, v39, v32
	v_sub_f32_e32 v24, v27, v26
	v_add_f32_e32 v25, v30, v51
	v_add_f32_e32 v26, v26, v27
	v_sub_f32_e32 v27, v51, v30
	v_sub_f32_e32 v29, v31, v37
	v_add_f32_e32 v30, v32, v39
	v_sub_f32_e32 v31, v36, v43
	v_add_f32_e32 v32, v42, v38
	ds_write2_b64 v53, v[4:5], v[20:21] offset1:11
	ds_write2_b64 v53, v[22:23], v[24:25] offset0:22 offset1:33
	ds_write2_b64 v53, v[26:27], v[29:30] offset0:44 offset1:55
	ds_write_b64 v53, v[31:32] offset:528
	v_mad_u64_u32 v[4:5], s[2:3], v48, 48, s[2:3]
	s_waitcnt lgkmcnt(0)
	s_barrier
	global_load_dwordx4 v[28:31], v[4:5], off offset:528
	global_load_dwordx4 v[24:27], v[4:5], off offset:544
	global_load_dwordx4 v[20:23], v[4:5], off offset:560
	ds_read2_b64 v[32:35], v52 offset1:77
	ds_read2_b64 v[36:39], v52 offset0:154 offset1:231
	ds_read2_b64 v[40:43], v40 offset0:52 offset1:129
	ds_read_b64 v[4:5], v52 offset:3696
	s_waitcnt vmcnt(2) lgkmcnt(3)
	v_mul_f32_e32 v51, v35, v29
	v_mul_f32_e32 v54, v34, v29
	s_waitcnt lgkmcnt(2)
	v_mul_f32_e32 v55, v37, v31
	s_waitcnt vmcnt(1)
	v_mul_f32_e32 v57, v39, v25
	s_waitcnt vmcnt(0) lgkmcnt(1)
	v_mul_f32_e32 v61, v43, v21
	s_waitcnt lgkmcnt(0)
	v_mul_f32_e32 v63, v5, v23
	v_mul_f32_e32 v56, v36, v31
	;; [unrolled: 1-line block ×6, first 2 shown]
	v_fma_f32 v34, v34, v28, -v51
	v_fmac_f32_e32 v54, v35, v28
	v_fma_f32 v35, v36, v30, -v55
	v_fma_f32 v36, v38, v24, -v57
	;; [unrolled: 1-line block ×4, first 2 shown]
	v_mul_f32_e32 v60, v40, v27
	v_fmac_f32_e32 v56, v37, v30
	v_fma_f32 v37, v40, v26, -v59
	v_fmac_f32_e32 v62, v43, v20
	v_fmac_f32_e32 v64, v5, v22
	v_add_f32_e32 v5, v34, v4
	v_add_f32_e32 v40, v35, v38
	v_fmac_f32_e32 v58, v39, v24
	v_fmac_f32_e32 v60, v41, v26
	v_add_f32_e32 v39, v54, v64
	v_add_f32_e32 v41, v56, v62
	;; [unrolled: 1-line block ×4, first 2 shown]
	v_sub_f32_e32 v4, v34, v4
	v_sub_f32_e32 v34, v54, v64
	v_add_f32_e32 v43, v58, v60
	v_add_f32_e32 v54, v41, v39
	v_sub_f32_e32 v55, v40, v5
	v_sub_f32_e32 v5, v5, v42
	v_sub_f32_e32 v40, v42, v40
	v_add_f32_e32 v42, v42, v51
	v_sub_f32_e32 v35, v35, v38
	v_sub_f32_e32 v38, v56, v62
	;; [unrolled: 1-line block ×6, first 2 shown]
	v_add_f32_e32 v43, v43, v54
	v_add_f32_e32 v32, v32, v42
	v_sub_f32_e32 v37, v60, v58
	v_add_f32_e32 v57, v36, v35
	v_sub_f32_e32 v59, v36, v35
	v_add_f32_e32 v33, v33, v43
	v_mov_b32_e32 v61, v32
	v_add_f32_e32 v58, v37, v38
	v_sub_f32_e32 v60, v37, v38
	v_sub_f32_e32 v36, v4, v36
	;; [unrolled: 1-line block ×4, first 2 shown]
	v_add_f32_e32 v4, v57, v4
	v_mul_f32_e32 v5, 0x3f4a47b2, v5
	v_mul_f32_e32 v39, 0x3f4a47b2, v39
	;; [unrolled: 1-line block ×5, first 2 shown]
	v_fmac_f32_e32 v61, 0xbf955555, v42
	v_mov_b32_e32 v42, v33
	v_sub_f32_e32 v37, v34, v37
	v_add_f32_e32 v34, v58, v34
	v_mul_f32_e32 v58, 0xbf08b237, v60
	v_mul_f32_e32 v59, 0x3f5ff5aa, v35
	;; [unrolled: 1-line block ×3, first 2 shown]
	v_fmac_f32_e32 v42, 0xbf955555, v43
	v_fma_f32 v43, v55, s9, -v51
	v_fma_f32 v51, v56, s9, -v54
	;; [unrolled: 1-line block ×3, first 2 shown]
	v_fmac_f32_e32 v5, 0x3d64c772, v40
	v_fma_f32 v40, v56, s10, -v39
	v_fmac_f32_e32 v39, 0x3d64c772, v41
	v_fma_f32 v41, v35, s8, -v57
	;; [unrolled: 2-line block ×4, first 2 shown]
	v_fma_f32 v59, v37, s11, -v60
	v_add_f32_e32 v51, v51, v42
	v_fmac_f32_e32 v41, 0x3ee1c552, v4
	v_add_f32_e32 v5, v5, v61
	v_add_f32_e32 v60, v39, v42
	v_add_f32_e32 v43, v43, v61
	v_add_f32_e32 v54, v54, v61
	v_add_f32_e32 v61, v40, v42
	v_fmac_f32_e32 v57, 0x3ee1c552, v4
	v_fmac_f32_e32 v58, 0x3ee1c552, v34
	;; [unrolled: 1-line block ×5, first 2 shown]
	v_add_f32_e32 v39, v41, v51
	v_sub_f32_e32 v41, v51, v41
	v_lshl_add_u32 v51, v48, 3, v49
	v_add_f32_e32 v34, v58, v5
	v_sub_f32_e32 v35, v60, v57
	v_add_f32_e32 v36, v59, v54
	v_sub_f32_e32 v37, v61, v56
	v_sub_f32_e32 v38, v43, v55
	v_add_f32_e32 v40, v55, v43
	v_sub_f32_e32 v42, v54, v59
	v_add_f32_e32 v43, v56, v61
	;; [unrolled: 2-line block ×3, first 2 shown]
	v_add_u32_e32 v54, 0x800, v51
	ds_write2_b64 v51, v[32:33], v[34:35] offset1:77
	ds_write2_b64 v51, v[36:37], v[38:39] offset0:154 offset1:231
	ds_write2_b64 v54, v[40:41], v[42:43] offset0:52 offset1:129
	ds_write_b64 v51, v[4:5] offset:3696
	s_waitcnt lgkmcnt(0)
	s_barrier
	s_and_saveexec_b64 s[2:3], s[0:1]
	s_cbranch_execz .LBB0_9
; %bb.8:
	v_mov_b32_e32 v55, s13
	v_add_co_u32_e32 v57, vcc, s12, v47
	v_addc_co_u32_e32 v58, vcc, 0, v55, vcc
	v_add_co_u32_e32 v55, vcc, 0x10d8, v57
	v_addc_co_u32_e32 v56, vcc, 0, v58, vcc
	v_add_co_u32_e32 v57, vcc, 0x1000, v57
	global_load_dwordx2 v[75:76], v[55:56], off offset:392
	global_load_dwordx2 v[77:78], v[55:56], off offset:784
	;; [unrolled: 1-line block ×9, first 2 shown]
	v_addc_co_u32_e32 v58, vcc, 0, v58, vcc
	global_load_dwordx2 v[93:94], v[57:58], off offset:216
	global_load_dwordx2 v[95:96], v[55:56], off offset:3920
	ds_read2_b64 v[55:58], v51 offset1:49
	ds_read2_b64 v[59:62], v51 offset0:98 offset1:147
	ds_read2_b64 v[63:66], v51 offset0:196 offset1:245
	;; [unrolled: 1-line block ×4, first 2 shown]
	ds_read_b64 v[97:98], v51 offset:3920
	s_waitcnt vmcnt(10) lgkmcnt(5)
	v_mul_f32_e32 v99, v58, v76
	v_mul_f32_e32 v100, v57, v76
	s_waitcnt vmcnt(9) lgkmcnt(4)
	v_mul_f32_e32 v101, v60, v78
	v_mul_f32_e32 v76, v59, v78
	s_waitcnt vmcnt(8)
	v_mul_f32_e32 v102, v62, v80
	v_mul_f32_e32 v78, v61, v80
	s_waitcnt vmcnt(7) lgkmcnt(3)
	v_mul_f32_e32 v103, v64, v82
	v_mul_f32_e32 v80, v63, v82
	s_waitcnt vmcnt(6)
	;; [unrolled: 6-line block ×4, first 2 shown]
	v_mul_f32_e32 v108, v74, v92
	v_mul_f32_e32 v90, v73, v92
	s_waitcnt vmcnt(1)
	v_mul_f32_e32 v109, v56, v94
	v_mul_f32_e32 v92, v55, v94
	v_fma_f32 v99, v57, v75, -v99
	v_fmac_f32_e32 v100, v58, v75
	v_fma_f32 v75, v59, v77, -v101
	v_fmac_f32_e32 v76, v60, v77
	;; [unrolled: 2-line block ×9, first 2 shown]
	s_waitcnt vmcnt(0) lgkmcnt(0)
	v_mul_f32_e32 v58, v98, v96
	v_mul_f32_e32 v57, v97, v96
	v_fma_f32 v91, v55, v93, -v109
	v_fmac_f32_e32 v92, v56, v93
	ds_write2_b64 v51, v[75:76], v[77:78] offset0:98 offset1:147
	ds_write2_b64 v51, v[79:80], v[81:82] offset0:196 offset1:245
	;; [unrolled: 1-line block ×4, first 2 shown]
	v_fma_f32 v56, v97, v95, -v58
	v_fmac_f32_e32 v57, v98, v95
	ds_write2_b64 v51, v[91:92], v[99:100] offset1:49
	ds_write_b64 v51, v[56:57] offset:3920
.LBB0_9:
	s_or_b64 exec, exec, s[2:3]
	s_waitcnt lgkmcnt(0)
	s_barrier
	s_and_saveexec_b64 s[2:3], s[0:1]
	s_cbranch_execz .LBB0_11
; %bb.10:
	v_add_u32_e32 v0, 0x800, v51
	ds_read2_b64 v[32:35], v51 offset1:49
	ds_read2_b64 v[36:39], v51 offset0:98 offset1:147
	ds_read2_b64 v[40:43], v51 offset0:196 offset1:245
	;; [unrolled: 1-line block ×4, first 2 shown]
	ds_read_b64 v[45:46], v51 offset:3920
.LBB0_11:
	s_or_b64 exec, exec, s[2:3]
	s_waitcnt lgkmcnt(0)
	s_barrier
	s_and_saveexec_b64 s[2:3], s[0:1]
	s_cbranch_execz .LBB0_13
; %bb.12:
	v_add_f32_e32 v62, v46, v35
	v_mul_f32_e32 v64, 0xbf75a155, v62
	v_add_f32_e32 v63, v3, v37
	v_sub_f32_e32 v65, v34, v45
	v_mov_b32_e32 v54, v64
	v_mul_f32_e32 v66, 0x3f575c64, v63
	v_fmac_f32_e32 v54, 0x3e903f40, v65
	v_sub_f32_e32 v67, v36, v2
	v_mov_b32_e32 v55, v66
	v_add_f32_e32 v68, v1, v39
	v_add_f32_e32 v54, v33, v54
	v_fmac_f32_e32 v55, 0xbf0a6770, v67
	v_mul_f32_e32 v69, 0xbf27a4f4, v68
	v_add_f32_e32 v54, v55, v54
	v_sub_f32_e32 v70, v38, v0
	v_mov_b32_e32 v55, v69
	v_add_f32_e32 v71, v7, v41
	v_fmac_f32_e32 v55, 0x3f4178ce, v70
	v_mul_f32_e32 v72, 0x3ed4b147, v71
	v_add_f32_e32 v54, v55, v54
	v_sub_f32_e32 v73, v40, v6
	v_mov_b32_e32 v55, v72
	;; [unrolled: 6-line block ×3, first 2 shown]
	v_sub_f32_e32 v78, v35, v46
	v_fmac_f32_e32 v55, 0x3f7d64f0, v76
	v_mul_f32_e32 v79, 0xbe903f40, v78
	v_sub_f32_e32 v81, v37, v3
	v_add_f32_e32 v55, v55, v54
	v_add_f32_e32 v77, v45, v34
	v_mov_b32_e32 v54, v79
	v_mul_f32_e32 v82, 0x3f0a6770, v81
	v_fmac_f32_e32 v54, 0xbf75a155, v77
	v_add_f32_e32 v80, v2, v36
	v_mov_b32_e32 v56, v82
	v_sub_f32_e32 v84, v39, v1
	v_add_f32_e32 v54, v32, v54
	v_fmac_f32_e32 v56, 0x3f575c64, v80
	v_mul_f32_e32 v85, 0xbf4178ce, v84
	v_add_f32_e32 v54, v56, v54
	v_add_f32_e32 v83, v0, v38
	v_mov_b32_e32 v56, v85
	v_sub_f32_e32 v87, v41, v7
	v_fmac_f32_e32 v56, 0xbf27a4f4, v83
	v_mul_f32_e32 v88, 0x3f68dda4, v87
	v_add_f32_e32 v54, v56, v54
	v_add_f32_e32 v86, v6, v40
	v_mov_b32_e32 v56, v88
	v_sub_f32_e32 v90, v43, v5
	v_fmac_f32_e32 v56, 0x3ed4b147, v86
	v_mul_f32_e32 v91, 0xbf7d64f0, v90
	v_add_f32_e32 v54, v56, v54
	v_add_f32_e32 v89, v4, v42
	v_mov_b32_e32 v56, v91
	v_fmac_f32_e32 v56, 0xbe11bafb, v89
	v_mul_f32_e32 v92, 0xbf27a4f4, v62
	v_add_f32_e32 v54, v56, v54
	v_mov_b32_e32 v56, v92
	v_mul_f32_e32 v93, 0xbe11bafb, v63
	v_fmac_f32_e32 v56, 0x3f4178ce, v65
	v_mov_b32_e32 v57, v93
	v_add_f32_e32 v56, v33, v56
	v_fmac_f32_e32 v57, 0xbf7d64f0, v67
	v_mul_f32_e32 v94, 0x3f575c64, v68
	v_add_f32_e32 v56, v57, v56
	v_mov_b32_e32 v57, v94
	v_fmac_f32_e32 v57, 0x3f0a6770, v70
	v_mul_f32_e32 v95, 0xbf75a155, v71
	v_add_f32_e32 v56, v57, v56
	v_mov_b32_e32 v57, v95
	;; [unrolled: 4-line block ×4, first 2 shown]
	v_mul_f32_e32 v98, 0x3f7d64f0, v81
	v_fmac_f32_e32 v56, 0xbf27a4f4, v77
	v_mov_b32_e32 v58, v98
	v_add_f32_e32 v56, v32, v56
	v_fmac_f32_e32 v58, 0xbe11bafb, v80
	v_mul_f32_e32 v99, 0xbf0a6770, v84
	v_add_f32_e32 v56, v58, v56
	v_mov_b32_e32 v58, v99
	v_fmac_f32_e32 v58, 0x3f575c64, v83
	v_mul_f32_e32 v100, 0xbe903f40, v87
	v_add_f32_e32 v56, v58, v56
	v_mov_b32_e32 v58, v100
	;; [unrolled: 4-line block ×4, first 2 shown]
	v_mul_f32_e32 v103, 0xbf75a155, v63
	v_fmac_f32_e32 v58, 0x3f7d64f0, v65
	v_mov_b32_e32 v59, v103
	v_add_f32_e32 v35, v35, v33
	v_add_f32_e32 v58, v33, v58
	v_fmac_f32_e32 v59, 0xbe903f40, v67
	v_mul_f32_e32 v104, 0x3ed4b147, v68
	v_add_f32_e32 v35, v37, v35
	v_add_f32_e32 v58, v59, v58
	v_mov_b32_e32 v59, v104
	v_add_f32_e32 v35, v39, v35
	v_fmac_f32_e32 v59, 0xbf68dda4, v70
	v_mul_f32_e32 v105, 0x3f575c64, v71
	v_add_f32_e32 v35, v41, v35
	v_add_f32_e32 v58, v59, v58
	v_mov_b32_e32 v59, v105
	;; [unrolled: 6-line block ×4, first 2 shown]
	v_mul_f32_e32 v108, 0x3e903f40, v81
	v_add_f32_e32 v1, v3, v1
	v_add_f32_e32 v3, v34, v32
	v_fmac_f32_e32 v58, 0xbe11bafb, v77
	v_mov_b32_e32 v60, v108
	v_add_f32_e32 v3, v36, v3
	v_add_f32_e32 v58, v32, v58
	v_fmac_f32_e32 v60, 0xbf75a155, v80
	v_mul_f32_e32 v109, 0x3f68dda4, v84
	v_add_f32_e32 v3, v38, v3
	v_add_f32_e32 v58, v60, v58
	v_mov_b32_e32 v60, v109
	v_add_f32_e32 v3, v40, v3
	v_fmac_f32_e32 v60, 0x3ed4b147, v83
	v_mul_f32_e32 v110, 0xbf0a6770, v87
	v_add_f32_e32 v3, v42, v3
	v_add_f32_e32 v58, v60, v58
	v_mov_b32_e32 v60, v110
	;; [unrolled: 6-line block ×3, first 2 shown]
	v_add_f32_e32 v0, v0, v3
	v_fmac_f32_e32 v64, 0xbe903f40, v65
	v_fmac_f32_e32 v60, 0xbf27a4f4, v89
	v_mul_f32_e32 v112, 0x3ed4b147, v62
	v_add_f32_e32 v0, v2, v0
	v_add_f32_e32 v2, v33, v64
	v_fmac_f32_e32 v66, 0x3f0a6770, v67
	v_add_f32_e32 v58, v60, v58
	v_mov_b32_e32 v60, v112
	v_mul_f32_e32 v113, 0xbf27a4f4, v63
	v_add_f32_e32 v2, v66, v2
	v_fmac_f32_e32 v69, 0xbf4178ce, v70
	v_fmac_f32_e32 v60, 0x3f68dda4, v65
	v_mov_b32_e32 v61, v113
	v_add_f32_e32 v2, v69, v2
	v_fmac_f32_e32 v72, 0x3f68dda4, v73
	s_mov_b32 s8, 0xbf75a155
	v_add_f32_e32 v60, v33, v60
	v_fmac_f32_e32 v61, 0x3f4178ce, v67
	v_mul_f32_e32 v114, 0xbf75a155, v68
	v_add_f32_e32 v2, v72, v2
	v_fmac_f32_e32 v75, 0xbf7d64f0, v76
	s_mov_b32 s9, 0x3f575c64
	v_add_f32_e32 v60, v61, v60
	v_mov_b32_e32 v61, v114
	v_add_f32_e32 v3, v75, v2
	v_fma_f32 v2, v77, s8, -v79
	s_mov_b32 s10, 0xbf27a4f4
	v_fmac_f32_e32 v61, 0xbe903f40, v70
	v_mul_f32_e32 v115, 0xbe11bafb, v71
	v_add_f32_e32 v2, v32, v2
	v_fma_f32 v4, v80, s9, -v82
	s_mov_b32 s11, 0x3ed4b147
	v_add_f32_e32 v60, v61, v60
	v_mov_b32_e32 v61, v115
	v_add_f32_e32 v2, v4, v2
	v_fma_f32 v4, v83, s10, -v85
	s_mov_b32 s16, 0xbe11bafb
	v_fmac_f32_e32 v61, 0xbf7d64f0, v73
	v_mul_f32_e32 v116, 0x3f575c64, v74
	v_add_f32_e32 v2, v4, v2
	v_fma_f32 v4, v86, s11, -v88
	v_add_f32_e32 v60, v61, v60
	v_mov_b32_e32 v61, v116
	v_add_f32_e32 v2, v4, v2
	v_fma_f32 v4, v89, s16, -v91
	v_fmac_f32_e32 v92, 0xbf4178ce, v65
	v_fmac_f32_e32 v61, 0xbf0a6770, v76
	v_mul_f32_e32 v117, 0xbf68dda4, v78
	v_add_f32_e32 v2, v4, v2
	v_add_f32_e32 v4, v33, v92
	v_fmac_f32_e32 v93, 0x3f7d64f0, v67
	v_add_f32_e32 v61, v61, v60
	v_mov_b32_e32 v60, v117
	v_mul_f32_e32 v118, 0xbf4178ce, v81
	v_add_f32_e32 v4, v93, v4
	v_fmac_f32_e32 v94, 0xbf0a6770, v70
	v_fmac_f32_e32 v60, 0x3ed4b147, v77
	v_mov_b32_e32 v119, v118
	v_add_f32_e32 v4, v94, v4
	v_fmac_f32_e32 v95, 0xbe903f40, v73
	v_add_f32_e32 v60, v32, v60
	v_fmac_f32_e32 v119, 0xbf27a4f4, v80
	;; [unrolled: 2-line block ×3, first 2 shown]
	v_add_f32_e32 v60, v119, v60
	v_mul_f32_e32 v119, 0x3e903f40, v84
	v_add_f32_e32 v5, v96, v4
	v_fma_f32 v4, v77, s10, -v97
	v_mov_b32_e32 v120, v119
	v_add_f32_e32 v4, v32, v4
	v_fma_f32 v6, v80, s16, -v98
	v_fmac_f32_e32 v120, 0xbf75a155, v83
	v_add_f32_e32 v4, v6, v4
	v_fma_f32 v6, v83, s9, -v99
	v_add_f32_e32 v60, v120, v60
	v_mul_f32_e32 v120, 0x3f7d64f0, v87
	v_add_f32_e32 v4, v6, v4
	v_fma_f32 v6, v86, s8, -v100
	v_mov_b32_e32 v121, v120
	v_add_f32_e32 v4, v6, v4
	v_fma_f32 v6, v89, s11, -v101
	v_fmac_f32_e32 v102, 0xbf7d64f0, v65
	v_fmac_f32_e32 v121, 0xbe11bafb, v86
	v_add_f32_e32 v4, v6, v4
	v_add_f32_e32 v6, v33, v102
	v_fmac_f32_e32 v103, 0x3e903f40, v67
	v_add_f32_e32 v60, v121, v60
	v_mul_f32_e32 v121, 0x3f0a6770, v90
	v_add_f32_e32 v6, v103, v6
	v_fmac_f32_e32 v104, 0x3f68dda4, v70
	v_mov_b32_e32 v122, v121
	v_add_f32_e32 v6, v104, v6
	v_fmac_f32_e32 v105, 0xbf0a6770, v73
	v_fmac_f32_e32 v122, 0x3f575c64, v89
	v_add_f32_e32 v6, v105, v6
	v_fmac_f32_e32 v106, 0xbf4178ce, v76
	v_add_f32_e32 v60, v122, v60
	v_mul_f32_e32 v122, 0x3f575c64, v62
	v_add_f32_e32 v7, v106, v6
	v_fma_f32 v6, v77, s16, -v107
	v_mov_b32_e32 v62, v122
	v_mul_f32_e32 v123, 0x3ed4b147, v63
	v_add_f32_e32 v6, v32, v6
	v_fma_f32 v34, v80, s8, -v108
	v_fmac_f32_e32 v62, 0x3f0a6770, v65
	v_mov_b32_e32 v63, v123
	v_add_f32_e32 v6, v34, v6
	v_fma_f32 v34, v83, s11, -v109
	v_add_f32_e32 v62, v33, v62
	v_fmac_f32_e32 v63, 0x3f68dda4, v67
	v_mul_f32_e32 v68, 0xbe11bafb, v68
	v_add_f32_e32 v6, v34, v6
	v_fma_f32 v34, v86, s9, -v110
	v_add_f32_e32 v62, v63, v62
	v_mov_b32_e32 v63, v68
	v_add_f32_e32 v6, v34, v6
	v_fma_f32 v34, v89, s10, -v111
	v_fmac_f32_e32 v112, 0xbf68dda4, v65
	v_fmac_f32_e32 v63, 0x3f7d64f0, v70
	v_mul_f32_e32 v71, 0xbf27a4f4, v71
	v_add_f32_e32 v6, v34, v6
	v_add_f32_e32 v34, v33, v112
	v_fmac_f32_e32 v113, 0xbf4178ce, v67
	v_add_f32_e32 v62, v63, v62
	v_mov_b32_e32 v63, v71
	v_add_f32_e32 v34, v113, v34
	v_fmac_f32_e32 v114, 0x3e903f40, v70
	v_fmac_f32_e32 v63, 0x3f4178ce, v73
	v_mul_f32_e32 v74, 0xbf75a155, v74
	v_add_f32_e32 v34, v114, v34
	v_fmac_f32_e32 v115, 0x3f7d64f0, v73
	v_add_f32_e32 v62, v63, v62
	v_mov_b32_e32 v63, v74
	v_add_f32_e32 v34, v115, v34
	v_fmac_f32_e32 v116, 0x3f0a6770, v76
	v_fmac_f32_e32 v63, 0x3e903f40, v76
	v_mul_f32_e32 v78, 0xbf0a6770, v78
	v_add_f32_e32 v35, v116, v34
	v_fma_f32 v34, v77, s11, -v117
	v_add_f32_e32 v63, v63, v62
	v_mov_b32_e32 v62, v78
	v_mul_f32_e32 v81, 0xbf68dda4, v81
	v_add_f32_e32 v34, v32, v34
	v_fma_f32 v36, v80, s10, -v118
	v_fmac_f32_e32 v62, 0x3f575c64, v77
	v_mov_b32_e32 v124, v81
	v_add_f32_e32 v34, v36, v34
	v_fma_f32 v36, v83, s8, -v119
	v_add_f32_e32 v62, v32, v62
	v_fmac_f32_e32 v124, 0x3ed4b147, v80
	v_mul_f32_e32 v84, 0xbf7d64f0, v84
	v_add_f32_e32 v34, v36, v34
	v_fma_f32 v36, v86, s16, -v120
	v_add_f32_e32 v62, v124, v62
	v_mov_b32_e32 v124, v84
	v_add_f32_e32 v34, v36, v34
	v_fma_f32 v36, v89, s9, -v121
	v_fmac_f32_e32 v124, 0xbe11bafb, v83
	v_mul_f32_e32 v87, 0xbf4178ce, v87
	v_add_f32_e32 v34, v36, v34
	v_fma_f32 v36, v77, s9, -v78
	v_add_f32_e32 v62, v124, v62
	v_mov_b32_e32 v124, v87
	v_fmac_f32_e32 v122, 0xbf0a6770, v65
	v_add_f32_e32 v32, v32, v36
	v_fma_f32 v36, v80, s11, -v81
	v_fmac_f32_e32 v124, 0xbf27a4f4, v86
	v_mul_f32_e32 v90, 0xbe903f40, v90
	v_add_f32_e32 v33, v33, v122
	v_fmac_f32_e32 v123, 0xbf68dda4, v67
	v_add_f32_e32 v32, v36, v32
	v_fma_f32 v36, v83, s16, -v84
	v_add_f32_e32 v62, v124, v62
	v_mov_b32_e32 v124, v90
	v_add_f32_e32 v33, v123, v33
	v_fmac_f32_e32 v68, 0xbf7d64f0, v70
	v_add_f32_e32 v32, v36, v32
	v_fma_f32 v36, v86, s10, -v87
	v_fmac_f32_e32 v124, 0xbf75a155, v89
	v_add_f32_e32 v33, v68, v33
	v_fmac_f32_e32 v71, 0xbf4178ce, v73
	v_add_f32_e32 v32, v36, v32
	v_fma_f32 v36, v89, s8, -v90
	v_add_f32_e32 v62, v124, v62
	v_add_f32_e32 v1, v46, v1
	;; [unrolled: 1-line block ×4, first 2 shown]
	v_fmac_f32_e32 v74, 0xbe903f40, v76
	v_add_f32_e32 v32, v36, v32
	v_lshl_add_u32 v36, v50, 3, v49
	v_add_f32_e32 v33, v74, v33
	ds_write2_b64 v36, v[0:1], v[62:63] offset1:1
	ds_write2_b64 v36, v[60:61], v[58:59] offset0:2 offset1:3
	ds_write2_b64 v36, v[56:57], v[54:55] offset0:4 offset1:5
	ds_write2_b64 v36, v[2:3], v[4:5] offset0:6 offset1:7
	ds_write2_b64 v36, v[6:7], v[34:35] offset0:8 offset1:9
	ds_write_b64 v36, v[32:33] offset:80
.LBB0_13:
	s_or_b64 exec, exec, s[2:3]
	s_waitcnt lgkmcnt(0)
	s_barrier
	ds_read2_b64 v[0:3], v52 offset1:77
	ds_read2_b64 v[4:7], v52 offset0:154 offset1:231
	v_add_u32_e32 v38, 0x800, v52
	ds_read2_b64 v[32:35], v38 offset0:52 offset1:129
	ds_read_b64 v[36:37], v52 offset:3696
	s_mov_b32 s2, 0xbf5ff5aa
	s_waitcnt lgkmcnt(3)
	v_mul_f32_e32 v39, v17, v3
	v_fmac_f32_e32 v39, v16, v2
	v_mul_f32_e32 v2, v17, v2
	v_fma_f32 v2, v16, v3, -v2
	s_waitcnt lgkmcnt(2)
	v_mul_f32_e32 v3, v19, v5
	v_fmac_f32_e32 v3, v18, v4
	v_mul_f32_e32 v4, v19, v4
	v_fma_f32 v4, v18, v5, -v4
	v_mul_f32_e32 v5, v13, v7
	v_fmac_f32_e32 v5, v12, v6
	v_mul_f32_e32 v6, v13, v6
	s_waitcnt lgkmcnt(1)
	v_mul_f32_e32 v13, v9, v35
	v_mul_f32_e32 v9, v9, v34
	v_fmac_f32_e32 v13, v8, v34
	v_fma_f32 v8, v8, v35, -v9
	s_waitcnt lgkmcnt(0)
	v_mul_f32_e32 v9, v11, v37
	v_mul_f32_e32 v11, v11, v36
	v_fma_f32 v6, v12, v7, -v6
	v_mul_f32_e32 v7, v15, v33
	v_mul_f32_e32 v12, v15, v32
	v_fmac_f32_e32 v9, v10, v36
	v_fma_f32 v10, v10, v37, -v11
	v_fmac_f32_e32 v7, v14, v32
	v_fma_f32 v12, v14, v33, -v12
	v_add_f32_e32 v11, v39, v9
	v_add_f32_e32 v14, v2, v10
	v_sub_f32_e32 v2, v2, v10
	v_add_f32_e32 v10, v3, v13
	v_add_f32_e32 v15, v4, v8
	v_sub_f32_e32 v4, v4, v8
	v_add_f32_e32 v8, v5, v7
	v_sub_f32_e32 v5, v7, v5
	;; [unrolled: 2-line block ×4, first 2 shown]
	v_add_f32_e32 v12, v15, v14
	v_add_f32_e32 v7, v8, v7
	v_sub_f32_e32 v9, v39, v9
	v_sub_f32_e32 v16, v10, v11
	v_sub_f32_e32 v11, v11, v8
	v_sub_f32_e32 v10, v8, v10
	v_add_f32_e32 v8, v13, v12
	v_add_f32_e32 v0, v0, v7
	v_sub_f32_e32 v17, v15, v14
	v_sub_f32_e32 v14, v14, v13
	v_sub_f32_e32 v15, v13, v15
	v_add_f32_e32 v18, v5, v3
	v_add_f32_e32 v19, v6, v4
	v_sub_f32_e32 v32, v5, v3
	v_sub_f32_e32 v33, v6, v4
	v_sub_f32_e32 v3, v3, v9
	v_sub_f32_e32 v4, v4, v2
	v_add_f32_e32 v1, v1, v8
	v_mov_b32_e32 v34, v0
	v_sub_f32_e32 v5, v9, v5
	v_sub_f32_e32 v6, v2, v6
	v_add_f32_e32 v9, v18, v9
	v_add_f32_e32 v2, v19, v2
	v_mul_f32_e32 v11, 0x3f4a47b2, v11
	v_mul_f32_e32 v12, 0x3f4a47b2, v14
	;; [unrolled: 1-line block ×8, first 2 shown]
	v_fmac_f32_e32 v34, 0xbf955555, v7
	v_mov_b32_e32 v7, v1
	s_mov_b32 s3, 0x3f3bfb3b
	s_mov_b32 s8, 0xbf3bfb3b
	;; [unrolled: 1-line block ×3, first 2 shown]
	v_fmac_f32_e32 v7, 0xbf955555, v8
	v_fma_f32 v8, v16, s3, -v13
	v_fma_f32 v13, v17, s3, -v14
	;; [unrolled: 1-line block ×3, first 2 shown]
	v_fmac_f32_e32 v11, 0x3d64c772, v10
	v_fma_f32 v10, v17, s8, -v12
	v_fmac_f32_e32 v12, 0x3d64c772, v15
	v_fma_f32 v15, v3, s2, -v18
	;; [unrolled: 2-line block ×4, first 2 shown]
	v_fma_f32 v32, v6, s9, -v33
	v_add_f32_e32 v33, v11, v34
	v_add_f32_e32 v35, v12, v7
	;; [unrolled: 1-line block ×6, first 2 shown]
	v_fmac_f32_e32 v18, 0xbee1c552, v9
	v_fmac_f32_e32 v19, 0xbee1c552, v2
	;; [unrolled: 1-line block ×6, first 2 shown]
	v_add_f32_e32 v2, v19, v33
	v_sub_f32_e32 v3, v35, v18
	v_add_f32_e32 v4, v32, v12
	v_sub_f32_e32 v5, v13, v17
	v_sub_f32_e32 v6, v8, v16
	v_add_f32_e32 v7, v15, v11
	v_add_f32_e32 v8, v16, v8
	v_sub_f32_e32 v9, v11, v15
	v_sub_f32_e32 v10, v12, v32
	v_add_f32_e32 v11, v17, v13
	v_sub_f32_e32 v12, v33, v19
	v_add_f32_e32 v13, v18, v35
	s_barrier
	ds_write2_b64 v53, v[0:1], v[2:3] offset1:11
	ds_write2_b64 v53, v[4:5], v[6:7] offset0:22 offset1:33
	ds_write2_b64 v53, v[8:9], v[10:11] offset0:44 offset1:55
	ds_write_b64 v53, v[12:13] offset:528
	s_waitcnt lgkmcnt(0)
	s_barrier
	ds_read2_b64 v[0:3], v52 offset1:77
	ds_read2_b64 v[4:7], v52 offset0:154 offset1:231
	ds_read2_b64 v[8:11], v38 offset0:52 offset1:129
	ds_read_b64 v[12:13], v52 offset:3696
	s_waitcnt lgkmcnt(3)
	v_mul_f32_e32 v14, v29, v3
	v_fmac_f32_e32 v14, v28, v2
	v_mul_f32_e32 v2, v29, v2
	v_fma_f32 v2, v28, v3, -v2
	s_waitcnt lgkmcnt(2)
	v_mul_f32_e32 v3, v31, v5
	v_fmac_f32_e32 v3, v30, v4
	v_mul_f32_e32 v4, v31, v4
	v_fma_f32 v4, v30, v5, -v4
	v_mul_f32_e32 v5, v25, v7
	v_fmac_f32_e32 v5, v24, v6
	v_mul_f32_e32 v6, v25, v6
	v_fma_f32 v6, v24, v7, -v6
	s_waitcnt lgkmcnt(1)
	v_mul_f32_e32 v7, v27, v9
	v_fmac_f32_e32 v7, v26, v8
	v_mul_f32_e32 v8, v27, v8
	v_fma_f32 v8, v26, v9, -v8
	;; [unrolled: 9-line block ×3, first 2 shown]
	v_add_f32_e32 v13, v14, v11
	v_add_f32_e32 v15, v2, v12
	v_sub_f32_e32 v2, v2, v12
	v_add_f32_e32 v12, v3, v9
	v_sub_f32_e32 v11, v14, v11
	;; [unrolled: 2-line block ×6, first 2 shown]
	v_add_f32_e32 v8, v14, v15
	v_add_f32_e32 v7, v9, v7
	;; [unrolled: 1-line block ×4, first 2 shown]
	v_sub_f32_e32 v16, v12, v13
	v_sub_f32_e32 v17, v14, v15
	;; [unrolled: 1-line block ×6, first 2 shown]
	v_add_f32_e32 v18, v5, v3
	v_add_f32_e32 v19, v6, v4
	v_sub_f32_e32 v20, v5, v3
	v_sub_f32_e32 v21, v6, v4
	v_add_f32_e32 v1, v1, v8
	v_mov_b32_e32 v22, v0
	v_sub_f32_e32 v5, v11, v5
	v_sub_f32_e32 v6, v2, v6
	;; [unrolled: 1-line block ×4, first 2 shown]
	v_add_f32_e32 v9, v18, v11
	v_add_f32_e32 v2, v19, v2
	v_mul_f32_e32 v10, 0x3f4a47b2, v13
	v_mul_f32_e32 v11, 0x3f4a47b2, v15
	;; [unrolled: 1-line block ×6, first 2 shown]
	v_fmac_f32_e32 v22, 0xbf955555, v7
	v_mov_b32_e32 v7, v1
	v_mul_f32_e32 v20, 0xbf5ff5aa, v3
	v_mul_f32_e32 v21, 0xbf5ff5aa, v4
	v_fmac_f32_e32 v7, 0xbf955555, v8
	v_fma_f32 v8, v16, s3, -v13
	v_fma_f32 v13, v17, s3, -v15
	v_fma_f32 v15, v16, s8, -v10
	v_fmac_f32_e32 v10, 0x3d64c772, v12
	v_fma_f32 v12, v17, s8, -v11
	v_fmac_f32_e32 v11, 0x3d64c772, v14
	v_fma_f32 v14, v3, s2, -v18
	;; [unrolled: 2-line block ×4, first 2 shown]
	v_fma_f32 v20, v6, s9, -v21
	v_add_f32_e32 v21, v10, v22
	v_add_f32_e32 v23, v11, v7
	v_fmac_f32_e32 v18, 0xbee1c552, v9
	v_fmac_f32_e32 v19, 0xbee1c552, v2
	v_add_f32_e32 v8, v8, v22
	v_add_f32_e32 v10, v13, v7
	;; [unrolled: 1-line block ×4, first 2 shown]
	v_fmac_f32_e32 v14, 0xbee1c552, v9
	v_fmac_f32_e32 v16, 0xbee1c552, v2
	;; [unrolled: 1-line block ×4, first 2 shown]
	v_add_f32_e32 v2, v19, v21
	v_sub_f32_e32 v3, v23, v18
	v_add_f32_e32 v4, v20, v11
	v_sub_f32_e32 v5, v12, v17
	v_sub_f32_e32 v6, v8, v16
	v_add_f32_e32 v7, v14, v10
	v_add_f32_e32 v8, v16, v8
	v_sub_f32_e32 v9, v10, v14
	v_sub_f32_e32 v10, v11, v20
	v_add_f32_e32 v11, v17, v12
	ds_write2_b64 v51, v[0:1], v[2:3] offset1:77
	ds_write2_b64 v51, v[4:5], v[6:7] offset0:154 offset1:231
	v_add_u32_e32 v0, 0x800, v51
	v_sub_f32_e32 v12, v21, v19
	v_add_f32_e32 v13, v18, v23
	ds_write2_b64 v0, v[8:9], v[10:11] offset0:52 offset1:129
	ds_write_b64 v51, v[12:13] offset:3696
	s_waitcnt lgkmcnt(0)
	s_barrier
	s_and_b64 exec, exec, s[0:1]
	s_cbranch_execz .LBB0_15
; %bb.14:
	global_load_dwordx2 v[9:10], v47, s[12:13]
	global_load_dwordx2 v[11:12], v47, s[12:13] offset:392
	global_load_dwordx2 v[13:14], v47, s[12:13] offset:784
	;; [unrolled: 1-line block ×4, first 2 shown]
	ds_read_b64 v[21:22], v51
	ds_read2_b64 v[1:4], v51 offset0:49 offset1:98
	ds_read2_b64 v[5:8], v51 offset0:147 offset1:196
	global_load_dwordx2 v[25:26], v47, s[12:13] offset:1960
	global_load_dwordx2 v[27:28], v47, s[12:13] offset:2352
	;; [unrolled: 1-line block ×3, first 2 shown]
	v_mad_u64_u32 v[19:20], s[0:1], s6, v44, 0
	v_mad_u64_u32 v[23:24], s[2:3], s4, v48, 0
	s_mul_i32 s3, s5, 0x188
	s_mul_hi_u32 s6, s4, 0x188
	s_add_i32 s3, s6, s3
	s_waitcnt lgkmcnt(2)
	v_mad_u64_u32 v[31:32], s[6:7], s7, v44, v[20:21]
	s_mul_i32 s2, s4, 0x188
	v_mov_b32_e32 v34, s15
	v_mov_b32_e32 v20, v31
	v_lshlrev_b64 v[19:20], 3, v[19:20]
	v_mov_b32_e32 v35, s3
	v_add_co_u32_e32 v19, vcc, s14, v19
	v_addc_co_u32_e32 v20, vcc, v34, v20, vcc
	s_mov_b32 s0, 0xdbe74d6b
	s_mov_b32 s1, 0x3f5e65a3
	s_waitcnt vmcnt(6) lgkmcnt(1)
	v_mul_f32_e32 v34, v2, v12
	v_mul_f32_e32 v12, v1, v12
	s_waitcnt vmcnt(4) lgkmcnt(0)
	v_mul_f32_e32 v36, v6, v16
	v_mul_f32_e32 v16, v5, v16
	s_waitcnt vmcnt(3)
	v_mul_f32_e32 v37, v8, v18
	s_waitcnt vmcnt(2)
	v_mad_u64_u32 v[32:33], s[4:5], s5, v48, v[24:25]
	v_mov_b32_e32 v33, s3
	v_mul_f32_e32 v18, v7, v18
	v_mov_b32_e32 v24, v32
	v_lshlrev_b64 v[23:24], 3, v[23:24]
	v_fmac_f32_e32 v34, v1, v11
	v_add_co_u32_e32 v19, vcc, v19, v23
	v_addc_co_u32_e32 v20, vcc, v20, v24, vcc
	v_add_co_u32_e32 v23, vcc, s2, v19
	v_addc_co_u32_e32 v24, vcc, v20, v33, vcc
	v_add_co_u32_e32 v31, vcc, s2, v23
	v_mul_f32_e32 v33, v22, v10
	v_mul_f32_e32 v10, v21, v10
	v_addc_co_u32_e32 v32, vcc, v24, v35, vcc
	v_mul_f32_e32 v35, v4, v14
	v_mul_f32_e32 v14, v3, v14
	v_fmac_f32_e32 v33, v21, v9
	v_fma_f32 v9, v9, v22, -v10
	v_fma_f32 v10, v11, v2, -v12
	v_fmac_f32_e32 v35, v3, v13
	v_fma_f32 v11, v13, v4, -v14
	v_cvt_f64_f32_e32 v[1:2], v33
	v_cvt_f64_f32_e32 v[3:4], v9
	v_fmac_f32_e32 v36, v5, v15
	v_fma_f32 v15, v15, v6, -v16
	v_fmac_f32_e32 v37, v7, v17
	v_fma_f32 v38, v17, v8, -v18
	v_cvt_f64_f32_e32 v[5:6], v34
	v_cvt_f64_f32_e32 v[7:8], v10
	;; [unrolled: 1-line block ×4, first 2 shown]
	v_mul_f64 v[1:2], v[1:2], s[0:1]
	v_mul_f64 v[3:4], v[3:4], s[0:1]
	;; [unrolled: 1-line block ×3, first 2 shown]
	global_load_dwordx2 v[21:22], v47, s[12:13] offset:3136
	v_mul_f64 v[7:8], v[7:8], s[0:1]
	v_mul_f64 v[9:10], v[9:10], s[0:1]
	v_mul_f64 v[11:12], v[11:12], s[0:1]
	v_cvt_f64_f32_e32 v[15:16], v15
	v_cvt_f32_f64_e32 v1, v[1:2]
	v_cvt_f32_f64_e32 v2, v[3:4]
	;; [unrolled: 1-line block ×3, first 2 shown]
	v_mul_f64 v[15:16], v[15:16], s[0:1]
	v_cvt_f32_f64_e32 v4, v[7:8]
	v_cvt_f32_f64_e32 v5, v[9:10]
	;; [unrolled: 1-line block ×3, first 2 shown]
	global_store_dwordx2 v[19:20], v[1:2], off
	global_store_dwordx2 v[23:24], v[3:4], off
	;; [unrolled: 1-line block ×3, first 2 shown]
	global_load_dwordx2 v[5:6], v47, s[12:13] offset:3528
	v_cvt_f64_f32_e32 v[13:14], v36
	v_cvt_f32_f64_e32 v8, v[15:16]
	global_load_dwordx2 v[15:16], v47, s[12:13] offset:3920
	v_cvt_f64_f32_e32 v[1:2], v38
	v_mul_f64 v[13:14], v[13:14], s[0:1]
	v_cvt_f64_f32_e32 v[17:18], v37
	v_mul_f64 v[11:12], v[1:2], s[0:1]
	v_add_u32_e32 v1, 0x400, v51
	ds_read2_b64 v[1:4], v1 offset0:117 offset1:166
	v_mul_f64 v[9:10], v[17:18], s[0:1]
	v_mov_b32_e32 v17, s3
	v_cvt_f32_f64_e32 v7, v[13:14]
	v_mov_b32_e32 v14, s3
	v_add_co_u32_e32 v13, vcc, s2, v31
	v_addc_co_u32_e32 v14, vcc, v32, v14, vcc
	global_store_dwordx2 v[13:14], v[7:8], off
	s_waitcnt lgkmcnt(0)
	v_mul_f32_e32 v7, v2, v26
	v_fmac_f32_e32 v7, v1, v25
	v_cvt_f64_f32_e32 v[7:8], v7
	v_mul_f32_e32 v1, v1, v26
	v_fma_f32 v1, v25, v2, -v1
	v_cvt_f64_f32_e32 v[1:2], v1
	v_mul_f64 v[7:8], v[7:8], s[0:1]
	v_cvt_f32_f64_e32 v9, v[9:10]
	v_cvt_f32_f64_e32 v10, v[11:12]
	v_mul_f64 v[1:2], v[1:2], s[0:1]
	v_mov_b32_e32 v12, s3
	v_add_co_u32_e32 v11, vcc, s2, v13
	v_addc_co_u32_e32 v12, vcc, v14, v12, vcc
	v_cvt_f32_f64_e32 v7, v[7:8]
	s_waitcnt vmcnt(8)
	v_mul_f32_e32 v8, v4, v28
	v_fmac_f32_e32 v8, v3, v27
	v_mul_f32_e32 v3, v3, v28
	v_fma_f32 v3, v27, v4, -v3
	v_cvt_f64_f32_e32 v[3:4], v3
	global_store_dwordx2 v[11:12], v[9:10], off
	v_cvt_f64_f32_e32 v[9:10], v8
	v_cvt_f32_f64_e32 v8, v[1:2]
	v_mul_f64 v[13:14], v[3:4], s[0:1]
	ds_read2_b64 v[1:4], v0 offset0:87 offset1:136
	v_add_co_u32_e32 v11, vcc, s2, v11
	v_addc_co_u32_e32 v12, vcc, v12, v17, vcc
	global_store_dwordx2 v[11:12], v[7:8], off
	s_waitcnt vmcnt(9) lgkmcnt(0)
	v_mul_f32_e32 v7, v2, v30
	v_fmac_f32_e32 v7, v1, v29
	v_cvt_f64_f32_e32 v[7:8], v7
	v_mul_f64 v[9:10], v[9:10], s[0:1]
	v_mul_f32_e32 v1, v1, v30
	v_fma_f32 v1, v29, v2, -v1
	v_mul_f64 v[7:8], v[7:8], s[0:1]
	v_cvt_f64_f32_e32 v[1:2], v1
	v_add_co_u32_e32 v11, vcc, s2, v11
	v_mul_f64 v[1:2], v[1:2], s[0:1]
	v_cvt_f32_f64_e32 v9, v[9:10]
	v_cvt_f32_f64_e32 v10, v[13:14]
	;; [unrolled: 1-line block ×3, first 2 shown]
	s_waitcnt vmcnt(8)
	v_mul_f32_e32 v8, v4, v22
	v_mov_b32_e32 v13, s3
	v_fmac_f32_e32 v8, v3, v21
	v_mul_f32_e32 v3, v3, v22
	v_addc_co_u32_e32 v12, vcc, v12, v13, vcc
	v_fma_f32 v3, v21, v4, -v3
	global_store_dwordx2 v[11:12], v[9:10], off
	v_cvt_f64_f32_e32 v[9:10], v8
	v_cvt_f64_f32_e32 v[3:4], v3
	v_cvt_f32_f64_e32 v8, v[1:2]
	v_mov_b32_e32 v1, s3
	v_add_co_u32_e32 v11, vcc, s2, v11
	v_mul_f64 v[9:10], v[9:10], s[0:1]
	v_mul_f64 v[13:14], v[3:4], s[0:1]
	v_addc_co_u32_e32 v12, vcc, v12, v1, vcc
	ds_read2_b64 v[0:3], v0 offset0:185 offset1:234
	global_store_dwordx2 v[11:12], v[7:8], off
	v_cvt_f32_f64_e32 v7, v[9:10]
	s_waitcnt vmcnt(6) lgkmcnt(0)
	v_mul_f32_e32 v4, v1, v6
	v_fmac_f32_e32 v4, v0, v5
	v_mul_f32_e32 v0, v0, v6
	v_fma_f32 v0, v5, v1, -v0
	v_cvt_f32_f64_e32 v8, v[13:14]
	v_cvt_f64_f32_e32 v[9:10], v4
	v_cvt_f64_f32_e32 v[0:1], v0
	v_mov_b32_e32 v13, s3
	v_add_co_u32_e32 v4, vcc, s2, v11
	v_addc_co_u32_e32 v5, vcc, v12, v13, vcc
	global_store_dwordx2 v[4:5], v[7:8], off
	v_mul_f64 v[6:7], v[9:10], s[0:1]
	v_mul_f64 v[0:1], v[0:1], s[0:1]
	s_waitcnt vmcnt(6)
	v_mul_f32_e32 v8, v3, v16
	v_fmac_f32_e32 v8, v2, v15
	v_mul_f32_e32 v2, v2, v16
	v_fma_f32 v2, v15, v3, -v2
	v_cvt_f64_f32_e32 v[8:9], v8
	v_cvt_f64_f32_e32 v[2:3], v2
	v_cvt_f32_f64_e32 v6, v[6:7]
	v_cvt_f32_f64_e32 v7, v[0:1]
	v_mul_f64 v[0:1], v[8:9], s[0:1]
	v_mul_f64 v[2:3], v[2:3], s[0:1]
	v_mov_b32_e32 v8, s3
	v_add_co_u32_e32 v4, vcc, s2, v4
	v_addc_co_u32_e32 v5, vcc, v5, v8, vcc
	global_store_dwordx2 v[4:5], v[6:7], off
	v_cvt_f32_f64_e32 v0, v[0:1]
	v_cvt_f32_f64_e32 v1, v[2:3]
	v_mov_b32_e32 v3, s3
	v_add_co_u32_e32 v2, vcc, s2, v4
	v_addc_co_u32_e32 v3, vcc, v5, v3, vcc
	global_store_dwordx2 v[2:3], v[0:1], off
.LBB0_15:
	s_endpgm
	.section	.rodata,"a",@progbits
	.p2align	6, 0x0
	.amdhsa_kernel bluestein_single_back_len539_dim1_sp_op_CI_CI
		.amdhsa_group_segment_fixed_size 12936
		.amdhsa_private_segment_fixed_size 0
		.amdhsa_kernarg_size 104
		.amdhsa_user_sgpr_count 6
		.amdhsa_user_sgpr_private_segment_buffer 1
		.amdhsa_user_sgpr_dispatch_ptr 0
		.amdhsa_user_sgpr_queue_ptr 0
		.amdhsa_user_sgpr_kernarg_segment_ptr 1
		.amdhsa_user_sgpr_dispatch_id 0
		.amdhsa_user_sgpr_flat_scratch_init 0
		.amdhsa_user_sgpr_private_segment_size 0
		.amdhsa_uses_dynamic_stack 0
		.amdhsa_system_sgpr_private_segment_wavefront_offset 0
		.amdhsa_system_sgpr_workgroup_id_x 1
		.amdhsa_system_sgpr_workgroup_id_y 0
		.amdhsa_system_sgpr_workgroup_id_z 0
		.amdhsa_system_sgpr_workgroup_info 0
		.amdhsa_system_vgpr_workitem_id 0
		.amdhsa_next_free_vgpr 129
		.amdhsa_next_free_sgpr 18
		.amdhsa_reserve_vcc 1
		.amdhsa_reserve_flat_scratch 0
		.amdhsa_float_round_mode_32 0
		.amdhsa_float_round_mode_16_64 0
		.amdhsa_float_denorm_mode_32 3
		.amdhsa_float_denorm_mode_16_64 3
		.amdhsa_dx10_clamp 1
		.amdhsa_ieee_mode 1
		.amdhsa_fp16_overflow 0
		.amdhsa_exception_fp_ieee_invalid_op 0
		.amdhsa_exception_fp_denorm_src 0
		.amdhsa_exception_fp_ieee_div_zero 0
		.amdhsa_exception_fp_ieee_overflow 0
		.amdhsa_exception_fp_ieee_underflow 0
		.amdhsa_exception_fp_ieee_inexact 0
		.amdhsa_exception_int_div_zero 0
	.end_amdhsa_kernel
	.text
.Lfunc_end0:
	.size	bluestein_single_back_len539_dim1_sp_op_CI_CI, .Lfunc_end0-bluestein_single_back_len539_dim1_sp_op_CI_CI
                                        ; -- End function
	.section	.AMDGPU.csdata,"",@progbits
; Kernel info:
; codeLenInByte = 9780
; NumSgprs: 22
; NumVgprs: 129
; ScratchSize: 0
; MemoryBound: 0
; FloatMode: 240
; IeeeMode: 1
; LDSByteSize: 12936 bytes/workgroup (compile time only)
; SGPRBlocks: 2
; VGPRBlocks: 32
; NumSGPRsForWavesPerEU: 22
; NumVGPRsForWavesPerEU: 129
; Occupancy: 1
; WaveLimiterHint : 1
; COMPUTE_PGM_RSRC2:SCRATCH_EN: 0
; COMPUTE_PGM_RSRC2:USER_SGPR: 6
; COMPUTE_PGM_RSRC2:TRAP_HANDLER: 0
; COMPUTE_PGM_RSRC2:TGID_X_EN: 1
; COMPUTE_PGM_RSRC2:TGID_Y_EN: 0
; COMPUTE_PGM_RSRC2:TGID_Z_EN: 0
; COMPUTE_PGM_RSRC2:TIDIG_COMP_CNT: 0
	.type	__hip_cuid_1467f9122466b9f7,@object ; @__hip_cuid_1467f9122466b9f7
	.section	.bss,"aw",@nobits
	.globl	__hip_cuid_1467f9122466b9f7
__hip_cuid_1467f9122466b9f7:
	.byte	0                               ; 0x0
	.size	__hip_cuid_1467f9122466b9f7, 1

	.ident	"AMD clang version 19.0.0git (https://github.com/RadeonOpenCompute/llvm-project roc-6.4.0 25133 c7fe45cf4b819c5991fe208aaa96edf142730f1d)"
	.section	".note.GNU-stack","",@progbits
	.addrsig
	.addrsig_sym __hip_cuid_1467f9122466b9f7
	.amdgpu_metadata
---
amdhsa.kernels:
  - .args:
      - .actual_access:  read_only
        .address_space:  global
        .offset:         0
        .size:           8
        .value_kind:     global_buffer
      - .actual_access:  read_only
        .address_space:  global
        .offset:         8
        .size:           8
        .value_kind:     global_buffer
      - .actual_access:  read_only
        .address_space:  global
        .offset:         16
        .size:           8
        .value_kind:     global_buffer
      - .actual_access:  read_only
        .address_space:  global
        .offset:         24
        .size:           8
        .value_kind:     global_buffer
      - .actual_access:  read_only
        .address_space:  global
        .offset:         32
        .size:           8
        .value_kind:     global_buffer
      - .offset:         40
        .size:           8
        .value_kind:     by_value
      - .address_space:  global
        .offset:         48
        .size:           8
        .value_kind:     global_buffer
      - .address_space:  global
        .offset:         56
        .size:           8
        .value_kind:     global_buffer
      - .address_space:  global
        .offset:         64
        .size:           8
        .value_kind:     global_buffer
      - .address_space:  global
        .offset:         72
        .size:           8
        .value_kind:     global_buffer
      - .offset:         80
        .size:           4
        .value_kind:     by_value
      - .address_space:  global
        .offset:         88
        .size:           8
        .value_kind:     global_buffer
      - .address_space:  global
        .offset:         96
        .size:           8
        .value_kind:     global_buffer
    .group_segment_fixed_size: 12936
    .kernarg_segment_align: 8
    .kernarg_segment_size: 104
    .language:       OpenCL C
    .language_version:
      - 2
      - 0
    .max_flat_workgroup_size: 231
    .name:           bluestein_single_back_len539_dim1_sp_op_CI_CI
    .private_segment_fixed_size: 0
    .sgpr_count:     22
    .sgpr_spill_count: 0
    .symbol:         bluestein_single_back_len539_dim1_sp_op_CI_CI.kd
    .uniform_work_group_size: 1
    .uses_dynamic_stack: false
    .vgpr_count:     129
    .vgpr_spill_count: 0
    .wavefront_size: 64
amdhsa.target:   amdgcn-amd-amdhsa--gfx906
amdhsa.version:
  - 1
  - 2
...

	.end_amdgpu_metadata
